;; amdgpu-corpus repo=ROCm/rocm-examples kind=compiled arch=gfx906 opt=O3
	.amdgcn_target "amdgcn-amd-amdhsa--gfx906"
	.amdhsa_code_object_version 6
	.text
	.protected	_Z10BFS_KernelP4NodePiPcS2_S2_S1_i ; -- Begin function _Z10BFS_KernelP4NodePiPcS2_S2_S1_i
	.globl	_Z10BFS_KernelP4NodePiPcS2_S2_S1_i
	.p2align	8
	.type	_Z10BFS_KernelP4NodePiPcS2_S2_S1_i,@function
_Z10BFS_KernelP4NodePiPcS2_S2_S1_i:     ; @_Z10BFS_KernelP4NodePiPcS2_S2_S1_i
; %bb.0:
	s_load_dword s0, s[4:5], 0x30
	v_lshl_add_u32 v5, s6, 9, v0
	s_waitcnt lgkmcnt(0)
	v_cmp_gt_i32_e32 vcc, s0, v5
	s_and_saveexec_b64 s[0:1], vcc
	s_cbranch_execz .LBB0_7
; %bb.1:
	s_load_dwordx8 s[8:15], s[4:5], 0x0
	v_ashrrev_i32_e32 v6, 31, v5
	s_waitcnt lgkmcnt(0)
	v_mov_b32_e32 v1, s13
	v_add_co_u32_e32 v0, vcc, s12, v5
	v_addc_co_u32_e32 v1, vcc, v1, v6, vcc
	global_load_ubyte v2, v[0:1], off
	s_waitcnt vmcnt(0)
	v_cmp_ne_u16_e32 vcc, 0, v2
	s_and_b64 exec, exec, vcc
	s_cbranch_execz .LBB0_7
; %bb.2:
	v_mov_b32_e32 v2, 0
	global_store_byte v[0:1], v2, off
	v_lshlrev_b64 v[0:1], 3, v[5:6]
	v_mov_b32_e32 v2, s9
	v_add_co_u32_e32 v0, vcc, s8, v0
	v_addc_co_u32_e32 v1, vcc, v2, v1, vcc
	global_load_dword v4, v[0:1], off offset:4
	s_load_dwordx4 s[0:3], s[4:5], 0x20
	s_waitcnt vmcnt(0)
	v_cmp_lt_i32_e32 vcc, 0, v4
	s_and_b64 exec, exec, vcc
	s_cbranch_execz .LBB0_7
; %bb.3:
	global_load_dword v2, v[0:1], off
	v_lshlrev_b64 v[5:6], 2, v[5:6]
	s_waitcnt lgkmcnt(0)
	v_mov_b32_e32 v3, s3
	v_add_co_u32_e32 v5, vcc, s2, v5
	v_addc_co_u32_e32 v6, vcc, v3, v6, vcc
	v_mov_b32_e32 v9, s11
	s_mov_b64 s[4:5], 0
	v_mov_b32_e32 v11, s1
	v_mov_b32_e32 v12, 1
	s_waitcnt vmcnt(0)
	v_ashrrev_i32_e32 v3, 31, v2
	v_lshlrev_b64 v[7:8], 2, v[2:3]
	v_mov_b32_e32 v3, v2
	v_add_co_u32_e32 v7, vcc, s10, v7
	v_addc_co_u32_e32 v8, vcc, v9, v8, vcc
	s_branch .LBB0_5
.LBB0_4:                                ;   in Loop: Header=BB0_5 Depth=1
	s_or_b64 exec, exec, s[6:7]
	v_add_u32_e32 v2, 1, v2
	s_waitcnt vmcnt(0)
	v_add_u32_e32 v9, v3, v4
	v_cmp_ge_i32_e32 vcc, v2, v9
	s_or_b64 s[4:5], vcc, s[4:5]
	v_add_co_u32_e32 v7, vcc, 4, v7
	v_addc_co_u32_e32 v8, vcc, 0, v8, vcc
	s_andn2_b64 exec, exec, s[4:5]
	s_cbranch_execz .LBB0_7
.LBB0_5:                                ; =>This Inner Loop Header: Depth=1
	global_load_dword v9, v[7:8], off
	s_waitcnt vmcnt(0)
	v_ashrrev_i32_e32 v10, 31, v9
	v_add_co_u32_e32 v13, vcc, s0, v9
	v_addc_co_u32_e32 v14, vcc, v11, v10, vcc
	global_load_ubyte v13, v[13:14], off
	s_waitcnt vmcnt(0)
	v_cmp_eq_u16_e32 vcc, 0, v13
	s_and_saveexec_b64 s[6:7], vcc
	s_cbranch_execz .LBB0_4
; %bb.6:                                ;   in Loop: Header=BB0_5 Depth=1
	global_load_dword v13, v[5:6], off
	v_mov_b32_e32 v14, s15
	v_lshlrev_b64 v[3:4], 2, v[9:10]
	v_add_co_u32_e32 v9, vcc, s14, v9
	v_addc_co_u32_e32 v10, vcc, v14, v10, vcc
	v_mov_b32_e32 v15, s3
	v_add_co_u32_e32 v3, vcc, s2, v3
	v_addc_co_u32_e32 v4, vcc, v15, v4, vcc
	s_waitcnt vmcnt(0)
	v_add_u32_e32 v13, 1, v13
	global_store_dword v[3:4], v13, off
	global_store_byte v[9:10], v12, off
	global_load_dwordx2 v[3:4], v[0:1], off
	s_branch .LBB0_4
.LBB0_7:
	s_endpgm
	.section	.rodata,"a",@progbits
	.p2align	6, 0x0
	.amdhsa_kernel _Z10BFS_KernelP4NodePiPcS2_S2_S1_i
		.amdhsa_group_segment_fixed_size 0
		.amdhsa_private_segment_fixed_size 0
		.amdhsa_kernarg_size 52
		.amdhsa_user_sgpr_count 6
		.amdhsa_user_sgpr_private_segment_buffer 1
		.amdhsa_user_sgpr_dispatch_ptr 0
		.amdhsa_user_sgpr_queue_ptr 0
		.amdhsa_user_sgpr_kernarg_segment_ptr 1
		.amdhsa_user_sgpr_dispatch_id 0
		.amdhsa_user_sgpr_flat_scratch_init 0
		.amdhsa_user_sgpr_private_segment_size 0
		.amdhsa_uses_dynamic_stack 0
		.amdhsa_system_sgpr_private_segment_wavefront_offset 0
		.amdhsa_system_sgpr_workgroup_id_x 1
		.amdhsa_system_sgpr_workgroup_id_y 0
		.amdhsa_system_sgpr_workgroup_id_z 0
		.amdhsa_system_sgpr_workgroup_info 0
		.amdhsa_system_vgpr_workitem_id 0
		.amdhsa_next_free_vgpr 16
		.amdhsa_next_free_sgpr 16
		.amdhsa_reserve_vcc 1
		.amdhsa_reserve_flat_scratch 0
		.amdhsa_float_round_mode_32 0
		.amdhsa_float_round_mode_16_64 0
		.amdhsa_float_denorm_mode_32 3
		.amdhsa_float_denorm_mode_16_64 3
		.amdhsa_dx10_clamp 1
		.amdhsa_ieee_mode 1
		.amdhsa_fp16_overflow 0
		.amdhsa_exception_fp_ieee_invalid_op 0
		.amdhsa_exception_fp_denorm_src 0
		.amdhsa_exception_fp_ieee_div_zero 0
		.amdhsa_exception_fp_ieee_overflow 0
		.amdhsa_exception_fp_ieee_underflow 0
		.amdhsa_exception_fp_ieee_inexact 0
		.amdhsa_exception_int_div_zero 0
	.end_amdhsa_kernel
	.text
.Lfunc_end0:
	.size	_Z10BFS_KernelP4NodePiPcS2_S2_S1_i, .Lfunc_end0-_Z10BFS_KernelP4NodePiPcS2_S2_S1_i
                                        ; -- End function
	.set _Z10BFS_KernelP4NodePiPcS2_S2_S1_i.num_vgpr, 16
	.set _Z10BFS_KernelP4NodePiPcS2_S2_S1_i.num_agpr, 0
	.set _Z10BFS_KernelP4NodePiPcS2_S2_S1_i.numbered_sgpr, 16
	.set _Z10BFS_KernelP4NodePiPcS2_S2_S1_i.num_named_barrier, 0
	.set _Z10BFS_KernelP4NodePiPcS2_S2_S1_i.private_seg_size, 0
	.set _Z10BFS_KernelP4NodePiPcS2_S2_S1_i.uses_vcc, 1
	.set _Z10BFS_KernelP4NodePiPcS2_S2_S1_i.uses_flat_scratch, 0
	.set _Z10BFS_KernelP4NodePiPcS2_S2_S1_i.has_dyn_sized_stack, 0
	.set _Z10BFS_KernelP4NodePiPcS2_S2_S1_i.has_recursion, 0
	.set _Z10BFS_KernelP4NodePiPcS2_S2_S1_i.has_indirect_call, 0
	.section	.AMDGPU.csdata,"",@progbits
; Kernel info:
; codeLenInByte = 396
; TotalNumSgprs: 20
; NumVgprs: 16
; ScratchSize: 0
; MemoryBound: 0
; FloatMode: 240
; IeeeMode: 1
; LDSByteSize: 0 bytes/workgroup (compile time only)
; SGPRBlocks: 2
; VGPRBlocks: 3
; NumSGPRsForWavesPerEU: 20
; NumVGPRsForWavesPerEU: 16
; Occupancy: 10
; WaveLimiterHint : 1
; COMPUTE_PGM_RSRC2:SCRATCH_EN: 0
; COMPUTE_PGM_RSRC2:USER_SGPR: 6
; COMPUTE_PGM_RSRC2:TRAP_HANDLER: 0
; COMPUTE_PGM_RSRC2:TGID_X_EN: 1
; COMPUTE_PGM_RSRC2:TGID_Y_EN: 0
; COMPUTE_PGM_RSRC2:TGID_Z_EN: 0
; COMPUTE_PGM_RSRC2:TIDIG_COMP_CNT: 0
	.text
	.protected	_Z10BFS_UpdatePcS_S_Pbi ; -- Begin function _Z10BFS_UpdatePcS_S_Pbi
	.globl	_Z10BFS_UpdatePcS_S_Pbi
	.p2align	8
	.type	_Z10BFS_UpdatePcS_S_Pbi,@function
_Z10BFS_UpdatePcS_S_Pbi:                ; @_Z10BFS_UpdatePcS_S_Pbi
; %bb.0:
	s_load_dword s0, s[4:5], 0x20
	v_lshl_add_u32 v2, s6, 9, v0
	s_waitcnt lgkmcnt(0)
	v_cmp_gt_i32_e32 vcc, s0, v2
	s_and_saveexec_b64 s[0:1], vcc
	s_cbranch_execz .LBB1_3
; %bb.1:
	s_load_dwordx8 s[8:15], s[4:5], 0x0
	v_ashrrev_i32_e32 v3, 31, v2
	s_waitcnt lgkmcnt(0)
	v_mov_b32_e32 v1, s11
	v_add_co_u32_e32 v0, vcc, s10, v2
	v_addc_co_u32_e32 v1, vcc, v1, v3, vcc
	global_load_ubyte v4, v[0:1], off
	s_waitcnt vmcnt(0)
	v_cmp_ne_u16_e32 vcc, 0, v4
	s_and_b64 exec, exec, vcc
	s_cbranch_execz .LBB1_3
; %bb.2:
	v_mov_b32_e32 v5, s13
	v_add_co_u32_e32 v4, vcc, s12, v2
	v_addc_co_u32_e32 v5, vcc, v5, v3, vcc
	v_mov_b32_e32 v7, s9
	v_add_co_u32_e32 v2, vcc, s8, v2
	v_addc_co_u32_e32 v3, vcc, v7, v3, vcc
	v_mov_b32_e32 v7, 1
	v_mov_b32_e32 v6, 0
	global_store_byte v[2:3], v7, off
	global_store_byte v[4:5], v7, off
	global_store_byte v6, v7, s[14:15]
	global_store_byte v[0:1], v6, off
.LBB1_3:
	s_endpgm
	.section	.rodata,"a",@progbits
	.p2align	6, 0x0
	.amdhsa_kernel _Z10BFS_UpdatePcS_S_Pbi
		.amdhsa_group_segment_fixed_size 0
		.amdhsa_private_segment_fixed_size 0
		.amdhsa_kernarg_size 36
		.amdhsa_user_sgpr_count 6
		.amdhsa_user_sgpr_private_segment_buffer 1
		.amdhsa_user_sgpr_dispatch_ptr 0
		.amdhsa_user_sgpr_queue_ptr 0
		.amdhsa_user_sgpr_kernarg_segment_ptr 1
		.amdhsa_user_sgpr_dispatch_id 0
		.amdhsa_user_sgpr_flat_scratch_init 0
		.amdhsa_user_sgpr_private_segment_size 0
		.amdhsa_uses_dynamic_stack 0
		.amdhsa_system_sgpr_private_segment_wavefront_offset 0
		.amdhsa_system_sgpr_workgroup_id_x 1
		.amdhsa_system_sgpr_workgroup_id_y 0
		.amdhsa_system_sgpr_workgroup_id_z 0
		.amdhsa_system_sgpr_workgroup_info 0
		.amdhsa_system_vgpr_workitem_id 0
		.amdhsa_next_free_vgpr 8
		.amdhsa_next_free_sgpr 16
		.amdhsa_reserve_vcc 1
		.amdhsa_reserve_flat_scratch 0
		.amdhsa_float_round_mode_32 0
		.amdhsa_float_round_mode_16_64 0
		.amdhsa_float_denorm_mode_32 3
		.amdhsa_float_denorm_mode_16_64 3
		.amdhsa_dx10_clamp 1
		.amdhsa_ieee_mode 1
		.amdhsa_fp16_overflow 0
		.amdhsa_exception_fp_ieee_invalid_op 0
		.amdhsa_exception_fp_denorm_src 0
		.amdhsa_exception_fp_ieee_div_zero 0
		.amdhsa_exception_fp_ieee_overflow 0
		.amdhsa_exception_fp_ieee_underflow 0
		.amdhsa_exception_fp_ieee_inexact 0
		.amdhsa_exception_int_div_zero 0
	.end_amdhsa_kernel
	.text
.Lfunc_end1:
	.size	_Z10BFS_UpdatePcS_S_Pbi, .Lfunc_end1-_Z10BFS_UpdatePcS_S_Pbi
                                        ; -- End function
	.set _Z10BFS_UpdatePcS_S_Pbi.num_vgpr, 8
	.set _Z10BFS_UpdatePcS_S_Pbi.num_agpr, 0
	.set _Z10BFS_UpdatePcS_S_Pbi.numbered_sgpr, 16
	.set _Z10BFS_UpdatePcS_S_Pbi.num_named_barrier, 0
	.set _Z10BFS_UpdatePcS_S_Pbi.private_seg_size, 0
	.set _Z10BFS_UpdatePcS_S_Pbi.uses_vcc, 1
	.set _Z10BFS_UpdatePcS_S_Pbi.uses_flat_scratch, 0
	.set _Z10BFS_UpdatePcS_S_Pbi.has_dyn_sized_stack, 0
	.set _Z10BFS_UpdatePcS_S_Pbi.has_recursion, 0
	.set _Z10BFS_UpdatePcS_S_Pbi.has_indirect_call, 0
	.section	.AMDGPU.csdata,"",@progbits
; Kernel info:
; codeLenInByte = 152
; TotalNumSgprs: 20
; NumVgprs: 8
; ScratchSize: 0
; MemoryBound: 0
; FloatMode: 240
; IeeeMode: 1
; LDSByteSize: 0 bytes/workgroup (compile time only)
; SGPRBlocks: 2
; VGPRBlocks: 1
; NumSGPRsForWavesPerEU: 20
; NumVGPRsForWavesPerEU: 8
; Occupancy: 10
; WaveLimiterHint : 0
; COMPUTE_PGM_RSRC2:SCRATCH_EN: 0
; COMPUTE_PGM_RSRC2:USER_SGPR: 6
; COMPUTE_PGM_RSRC2:TRAP_HANDLER: 0
; COMPUTE_PGM_RSRC2:TGID_X_EN: 1
; COMPUTE_PGM_RSRC2:TGID_Y_EN: 0
; COMPUTE_PGM_RSRC2:TGID_Z_EN: 0
; COMPUTE_PGM_RSRC2:TIDIG_COMP_CNT: 0
	.section	.AMDGPU.gpr_maximums,"",@progbits
	.set amdgpu.max_num_vgpr, 0
	.set amdgpu.max_num_agpr, 0
	.set amdgpu.max_num_sgpr, 0
	.section	.AMDGPU.csdata,"",@progbits
	.type	__hip_cuid_df85b365fb39f0e6,@object ; @__hip_cuid_df85b365fb39f0e6
	.section	.bss,"aw",@nobits
	.globl	__hip_cuid_df85b365fb39f0e6
__hip_cuid_df85b365fb39f0e6:
	.byte	0                               ; 0x0
	.size	__hip_cuid_df85b365fb39f0e6, 1

	.ident	"AMD clang version 22.0.0git (https://github.com/RadeonOpenCompute/llvm-project roc-7.2.4 26084 f58b06dce1f9c15707c5f808fd002e18c2accf7e)"
	.section	".note.GNU-stack","",@progbits
	.addrsig
	.addrsig_sym __hip_cuid_df85b365fb39f0e6
	.amdgpu_metadata
---
amdhsa.kernels:
  - .args:
      - .address_space:  global
        .offset:         0
        .size:           8
        .value_kind:     global_buffer
      - .address_space:  global
        .offset:         8
        .size:           8
        .value_kind:     global_buffer
      - .address_space:  global
        .offset:         16
        .size:           8
        .value_kind:     global_buffer
      - .address_space:  global
        .offset:         24
        .size:           8
        .value_kind:     global_buffer
      - .address_space:  global
        .offset:         32
        .size:           8
        .value_kind:     global_buffer
      - .address_space:  global
        .offset:         40
        .size:           8
        .value_kind:     global_buffer
      - .offset:         48
        .size:           4
        .value_kind:     by_value
    .group_segment_fixed_size: 0
    .kernarg_segment_align: 8
    .kernarg_segment_size: 52
    .language:       OpenCL C
    .language_version:
      - 2
      - 0
    .max_flat_workgroup_size: 1024
    .name:           _Z10BFS_KernelP4NodePiPcS2_S2_S1_i
    .private_segment_fixed_size: 0
    .sgpr_count:     20
    .sgpr_spill_count: 0
    .symbol:         _Z10BFS_KernelP4NodePiPcS2_S2_S1_i.kd
    .uniform_work_group_size: 1
    .uses_dynamic_stack: false
    .vgpr_count:     16
    .vgpr_spill_count: 0
    .wavefront_size: 64
  - .args:
      - .address_space:  global
        .offset:         0
        .size:           8
        .value_kind:     global_buffer
      - .address_space:  global
        .offset:         8
        .size:           8
        .value_kind:     global_buffer
      - .address_space:  global
        .offset:         16
        .size:           8
        .value_kind:     global_buffer
      - .address_space:  global
        .offset:         24
        .size:           8
        .value_kind:     global_buffer
      - .offset:         32
        .size:           4
        .value_kind:     by_value
    .group_segment_fixed_size: 0
    .kernarg_segment_align: 8
    .kernarg_segment_size: 36
    .language:       OpenCL C
    .language_version:
      - 2
      - 0
    .max_flat_workgroup_size: 1024
    .name:           _Z10BFS_UpdatePcS_S_Pbi
    .private_segment_fixed_size: 0
    .sgpr_count:     20
    .sgpr_spill_count: 0
    .symbol:         _Z10BFS_UpdatePcS_S_Pbi.kd
    .uniform_work_group_size: 1
    .uses_dynamic_stack: false
    .vgpr_count:     8
    .vgpr_spill_count: 0
    .wavefront_size: 64
amdhsa.target:   amdgcn-amd-amdhsa--gfx906
amdhsa.version:
  - 1
  - 2
...

	.end_amdgpu_metadata
